;; amdgpu-corpus repo=FlagOpen/FlagGems kind=triton arch=gfx950 opt=O3 lang=triton
	.amdgcn_target "amdgcn-amd-amdhsa--gfx950"
	.amdhsa_code_object_version 5
	.text
	.globl	arange_func                     ; -- Begin function arange_func
	.p2align	8
	.type	arange_func,@function
arange_func:                            ; @arange_func
.Lfunc_begin0:
	.cfi_sections .debug_frame
	.cfi_startproc
; %bb.1:
	.file	1 "/root/src/amdgpu-assembly/repos/FlagOpen__FlagGems/triton_aot_kernels" "arange_aot.py"
	.loc	1 8 0 prologue_end              ; arange_aot.py:8:0
	s_load_dwordx2 s[2:3], s[0:1], 0x0
	s_load_dwordx8 s[4:11], s[0:1], 0x8
	s_waitcnt lgkmcnt(0)
	s_branch .LBB0_0
	.loc	1 0 0 is_stmt 0                 ; :0:0
.Ltmp0:
	.p2align	8
; %bb.2:
.LBB0_0:
.Ltmp1:
	.loc	1 13 24 is_stmt 1               ; arange_aot.py:13:24
	v_readfirstlane_b32 s0, v0
	.loc	1 16 27                         ; arange_aot.py:16:27
	s_and_b32 s5, s0, 0xc0
	.loc	1 10 19                         ; arange_aot.py:10:19
	s_lshl_b32 s8, s12, 10
	.loc	1 13 24                         ; arange_aot.py:13:24
	v_and_or_b32 v2, v0, 63, s5
	v_or_b32_e32 v3, 0x100, v2
	v_or_b32_e32 v4, 0x200, v2
	;; [unrolled: 1-line block ×3, first 2 shown]
	.loc	1 11 37                         ; arange_aot.py:11:37
	v_cvt_f32_i32_e32 v0, s8
	.loc	1 14 24                         ; arange_aot.py:14:24
	v_cvt_f32_u32_e32 v6, v3
	v_cvt_f32_u32_e32 v7, v4
	v_cvt_f32_u32_e32 v8, v5
	.loc	1 10 13                         ; arange_aot.py:10:13
	s_ashr_i32 s9, s8, 31
	.loc	1 11 37                         ; arange_aot.py:11:37
	v_cvt_f32_ubyte0_e32 v1, v2
	.loc	1 10 13                         ; arange_aot.py:10:13
	s_lshl_b64 s[0:1], s[8:9], 2
	.loc	1 11 37                         ; arange_aot.py:11:37
	v_pk_mul_f32 v[0:1], s[6:7], v[0:1] op_sel_hi:[0,1]
	.loc	1 10 13                         ; arange_aot.py:10:13
	s_add_u32 s0, s2, s0
	.loc	1 14 31                         ; arange_aot.py:14:31
	v_add_f32_e32 v1, v0, v1
	v_fma_f32 v6, s6, v6, v0
	v_fma_f32 v7, s6, v7, v0
	v_fmac_f32_e32 v0, s6, v8
	.loc	1 15 18                         ; arange_aot.py:15:18
	v_or_b32_e32 v8, s8, v2
	.loc	1 10 13                         ; arange_aot.py:10:13
	s_addc_u32 s1, s3, s1
	.loc	1 16 27                         ; arange_aot.py:16:27
	v_lshlrev_b32_e32 v2, 2, v2
	v_bfrev_b32_e32 v12, 1
	.loc	1 16 51 is_stmt 0               ; arange_aot.py:16:51
	v_cmp_gt_i32_e32 vcc, s7, v8
	.loc	1 14 45 is_stmt 1               ; arange_aot.py:14:45
	v_add_f32_e32 v1, s4, v1
	.loc	1 15 18                         ; arange_aot.py:15:18
	v_or_b32_e32 v9, s8, v3
	.loc	1 16 27                         ; arange_aot.py:16:27
	s_and_b32 s1, s1, 0xffff
	s_mov_b32 s3, 0x27000
	s_mov_b32 s2, 0x7ffffffe
	v_cndmask_b32_e32 v2, v12, v2, vcc
	buffer_store_dword v1, v2, s[0:3], 0 offen
	v_lshlrev_b32_e32 v1, 2, v3
	.loc	1 16 51 is_stmt 0               ; arange_aot.py:16:51
	v_cmp_gt_i32_e32 vcc, s7, v9
	.loc	1 14 45 is_stmt 1               ; arange_aot.py:14:45
	v_add_f32_e32 v6, s4, v6
	.loc	1 15 18                         ; arange_aot.py:15:18
	v_or_b32_e32 v10, s8, v4
	.loc	1 16 27                         ; arange_aot.py:16:27
	v_cndmask_b32_e32 v1, v12, v1, vcc
	buffer_store_dword v6, v1, s[0:3], 0 offen
	v_lshlrev_b32_e32 v1, 2, v4
	.loc	1 16 51 is_stmt 0               ; arange_aot.py:16:51
	v_cmp_gt_i32_e32 vcc, s7, v10
	.loc	1 14 45 is_stmt 1               ; arange_aot.py:14:45
	v_add_f32_e32 v7, s4, v7
	.loc	1 15 18                         ; arange_aot.py:15:18
	v_or_b32_e32 v11, s8, v5
	.loc	1 16 27                         ; arange_aot.py:16:27
	v_cndmask_b32_e32 v1, v12, v1, vcc
	buffer_store_dword v7, v1, s[0:3], 0 offen
	v_lshlrev_b32_e32 v1, 2, v5
	.loc	1 16 51 is_stmt 0               ; arange_aot.py:16:51
	v_cmp_gt_i32_e32 vcc, s7, v11
	.loc	1 14 45 is_stmt 1               ; arange_aot.py:14:45
	v_add_f32_e32 v0, s4, v0
	.loc	1 16 27                         ; arange_aot.py:16:27
	s_nop 0
	v_cndmask_b32_e32 v1, v12, v1, vcc
	buffer_store_dword v0, v1, s[0:3], 0 offen
	.loc	1 16 4 is_stmt 0                ; arange_aot.py:16:4
	s_endpgm
.Ltmp2:
	.section	.rodata,"a",@progbits
	.p2align	6, 0x0
	.amdhsa_kernel arange_func
		.amdhsa_group_segment_fixed_size 0
		.amdhsa_private_segment_fixed_size 0
		.amdhsa_kernarg_size 40
		.amdhsa_user_sgpr_count 12
		.amdhsa_user_sgpr_dispatch_ptr 0
		.amdhsa_user_sgpr_queue_ptr 0
		.amdhsa_user_sgpr_kernarg_segment_ptr 1
		.amdhsa_user_sgpr_dispatch_id 0
		.amdhsa_user_sgpr_kernarg_preload_length 10
		.amdhsa_user_sgpr_kernarg_preload_offset 0
		.amdhsa_user_sgpr_private_segment_size 0
		.amdhsa_uses_dynamic_stack 0
		.amdhsa_enable_private_segment 0
		.amdhsa_system_sgpr_workgroup_id_x 1
		.amdhsa_system_sgpr_workgroup_id_y 0
		.amdhsa_system_sgpr_workgroup_id_z 0
		.amdhsa_system_sgpr_workgroup_info 0
		.amdhsa_system_vgpr_workitem_id 0
		.amdhsa_next_free_vgpr 13
		.amdhsa_next_free_sgpr 13
		.amdhsa_accum_offset 16
		.amdhsa_reserve_vcc 1
		.amdhsa_reserve_xnack_mask 1
		.amdhsa_float_round_mode_32 0
		.amdhsa_float_round_mode_16_64 0
		.amdhsa_float_denorm_mode_32 3
		.amdhsa_float_denorm_mode_16_64 3
		.amdhsa_dx10_clamp 1
		.amdhsa_ieee_mode 1
		.amdhsa_fp16_overflow 0
		.amdhsa_tg_split 0
		.amdhsa_exception_fp_ieee_invalid_op 0
		.amdhsa_exception_fp_denorm_src 0
		.amdhsa_exception_fp_ieee_div_zero 0
		.amdhsa_exception_fp_ieee_overflow 0
		.amdhsa_exception_fp_ieee_underflow 0
		.amdhsa_exception_fp_ieee_inexact 0
		.amdhsa_exception_int_div_zero 0
	.end_amdhsa_kernel
	.text
.Lfunc_end0:
	.size	arange_func, .Lfunc_end0-arange_func
	.cfi_endproc
                                        ; -- End function
	.set arange_func.num_vgpr, 13
	.set arange_func.num_agpr, 0
	.set arange_func.numbered_sgpr, 13
	.set arange_func.num_named_barrier, 0
	.set arange_func.private_seg_size, 0
	.set arange_func.uses_vcc, 1
	.set arange_func.uses_flat_scratch, 0
	.set arange_func.has_dyn_sized_stack, 0
	.set arange_func.has_recursion, 0
	.set arange_func.has_indirect_call, 0
	.section	.AMDGPU.csdata,"",@progbits
; Kernel info:
; codeLenInByte = 520
; TotalNumSgprs: 19
; NumVgprs: 13
; NumAgprs: 0
; TotalNumVgprs: 13
; ScratchSize: 0
; MemoryBound: 0
; FloatMode: 240
; IeeeMode: 1
; LDSByteSize: 0 bytes/workgroup (compile time only)
; SGPRBlocks: 2
; VGPRBlocks: 1
; NumSGPRsForWavesPerEU: 19
; NumVGPRsForWavesPerEU: 13
; AccumOffset: 16
; Occupancy: 8
; WaveLimiterHint : 0
; COMPUTE_PGM_RSRC2:SCRATCH_EN: 0
; COMPUTE_PGM_RSRC2:USER_SGPR: 12
; COMPUTE_PGM_RSRC2:TRAP_HANDLER: 0
; COMPUTE_PGM_RSRC2:TGID_X_EN: 1
; COMPUTE_PGM_RSRC2:TGID_Y_EN: 0
; COMPUTE_PGM_RSRC2:TGID_Z_EN: 0
; COMPUTE_PGM_RSRC2:TIDIG_COMP_CNT: 0
; COMPUTE_PGM_RSRC3_GFX90A:ACCUM_OFFSET: 3
; COMPUTE_PGM_RSRC3_GFX90A:TG_SPLIT: 0
	.text
	.p2alignl 6, 3212836864
	.fill 256, 4, 3212836864
	.section	.AMDGPU.gpr_maximums,"",@progbits
	.set amdgpu.max_num_vgpr, 0
	.set amdgpu.max_num_agpr, 0
	.set amdgpu.max_num_sgpr, 0
	.set amdgpu.max_num_named_barrier, 0
	.text
	.section	.debug_abbrev,"",@progbits
	.byte	1                               ; Abbreviation Code
	.byte	17                              ; DW_TAG_compile_unit
	.byte	0                               ; DW_CHILDREN_no
	.byte	37                              ; DW_AT_producer
	.byte	14                              ; DW_FORM_strp
	.byte	19                              ; DW_AT_language
	.byte	5                               ; DW_FORM_data2
	.byte	3                               ; DW_AT_name
	.byte	14                              ; DW_FORM_strp
	.byte	16                              ; DW_AT_stmt_list
	.byte	23                              ; DW_FORM_sec_offset
	.byte	27                              ; DW_AT_comp_dir
	.byte	14                              ; DW_FORM_strp
	.byte	17                              ; DW_AT_low_pc
	.byte	1                               ; DW_FORM_addr
	.byte	18                              ; DW_AT_high_pc
	.byte	6                               ; DW_FORM_data4
	.byte	0                               ; EOM(1)
	.byte	0                               ; EOM(2)
	;; [unrolled: 1-line block ×3, first 2 shown]
	.section	.debug_info,"",@progbits
.Lcu_begin0:
	.long	.Ldebug_info_end0-.Ldebug_info_start0 ; Length of Unit
.Ldebug_info_start0:
	.short	4                               ; DWARF version number
	.long	.debug_abbrev                   ; Offset Into Abbrev. Section
	.byte	8                               ; Address Size (in bytes)
	.byte	1                               ; Abbrev [1] 0xb:0x1f DW_TAG_compile_unit
	.long	.Linfo_string0                  ; DW_AT_producer
	.short	2                               ; DW_AT_language
	.long	.Linfo_string1                  ; DW_AT_name
	.long	.Lline_table_start0             ; DW_AT_stmt_list
	.long	.Linfo_string2                  ; DW_AT_comp_dir
	.quad	.Lfunc_begin0                   ; DW_AT_low_pc
	.long	.Lfunc_end0-.Lfunc_begin0       ; DW_AT_high_pc
.Ldebug_info_end0:
	.section	.debug_str,"MS",@progbits,1
.Linfo_string0:
	.asciz	"triton"                        ; string offset=0
.Linfo_string1:
	.asciz	"arange_aot.py"                 ; string offset=7
.Linfo_string2:
	.asciz	"/root/src/amdgpu-assembly/repos/FlagOpen__FlagGems/triton_aot_kernels" ; string offset=21
	.section	".note.GNU-stack","",@progbits
	.amdgpu_metadata
---
amdhsa.kernels:
  - .agpr_count:     0
    .args:
      - .address_space:  global
        .offset:         0
        .size:           8
        .value_kind:     global_buffer
      - .offset:         8
        .size:           4
        .value_kind:     by_value
      - .offset:         12
        .size:           4
        .value_kind:     by_value
      - .offset:         16
        .size:           4
        .value_kind:     by_value
      - .offset:         20
        .size:           4
        .value_kind:     by_value
      - .address_space:  global
        .offset:         24
        .size:           8
        .value_kind:     global_buffer
      - .address_space:  global
        .offset:         32
        .size:           8
        .value_kind:     global_buffer
    .group_segment_fixed_size: 0
    .kernarg_segment_align: 8
    .kernarg_segment_size: 40
    .max_flat_workgroup_size: 256
    .name:           arange_func
    .private_segment_fixed_size: 0
    .sgpr_count:     19
    .sgpr_spill_count: 0
    .symbol:         arange_func.kd
    .uniform_work_group_size: 1
    .uses_dynamic_stack: false
    .vgpr_count:     13
    .vgpr_spill_count: 0
    .wavefront_size: 64
amdhsa.target:   amdgcn-amd-amdhsa--gfx950
amdhsa.version:
  - 1
  - 2
...

	.end_amdgpu_metadata
	.section	.debug_line,"",@progbits
.Lline_table_start0:
